;; amdgpu-corpus repo=ROCm/rocFFT kind=compiled arch=gfx1030 opt=O3
	.text
	.amdgcn_target "amdgcn-amd-amdhsa--gfx1030"
	.amdhsa_code_object_version 6
	.protected	fft_rtc_fwd_len200_factors_10_10_2_wgs_60_tpt_20_halfLds_dp_op_CI_CI_unitstride_sbrr_dirReg ; -- Begin function fft_rtc_fwd_len200_factors_10_10_2_wgs_60_tpt_20_halfLds_dp_op_CI_CI_unitstride_sbrr_dirReg
	.globl	fft_rtc_fwd_len200_factors_10_10_2_wgs_60_tpt_20_halfLds_dp_op_CI_CI_unitstride_sbrr_dirReg
	.p2align	8
	.type	fft_rtc_fwd_len200_factors_10_10_2_wgs_60_tpt_20_halfLds_dp_op_CI_CI_unitstride_sbrr_dirReg,@function
fft_rtc_fwd_len200_factors_10_10_2_wgs_60_tpt_20_halfLds_dp_op_CI_CI_unitstride_sbrr_dirReg: ; @fft_rtc_fwd_len200_factors_10_10_2_wgs_60_tpt_20_halfLds_dp_op_CI_CI_unitstride_sbrr_dirReg
; %bb.0:
	s_load_dwordx4 s[12:15], s[4:5], 0x0
	v_mul_u32_u24_e32 v1, 0xccd, v0
	s_clause 0x1
	s_load_dwordx4 s[8:11], s[4:5], 0x58
	s_load_dwordx4 s[16:19], s[4:5], 0x18
	v_mov_b32_e32 v4, 0
	v_mov_b32_e32 v5, 0
	v_lshrrev_b32_e32 v2, 16, v1
	v_mov_b32_e32 v1, 0
	v_mov_b32_e32 v41, v5
	;; [unrolled: 1-line block ×3, first 2 shown]
	v_mad_u64_u32 v[46:47], null, s6, 3, v[2:3]
	v_mov_b32_e32 v47, v1
	v_mov_b32_e32 v44, v46
	s_waitcnt lgkmcnt(0)
	v_cmp_lt_u64_e64 s0, s[14:15], 2
	v_mov_b32_e32 v45, v47
	s_and_b32 vcc_lo, exec_lo, s0
	s_cbranch_vccnz .LBB0_8
; %bb.1:
	s_load_dwordx2 s[0:1], s[4:5], 0x10
	v_mov_b32_e32 v4, 0
	v_mov_b32_e32 v5, 0
	s_add_u32 s2, s18, 8
	v_mov_b32_e32 v6, v46
	s_addc_u32 s3, s19, 0
	v_mov_b32_e32 v7, v47
	v_mov_b32_e32 v41, v5
	s_add_u32 s6, s16, 8
	v_mov_b32_e32 v40, v4
	s_addc_u32 s7, s17, 0
	s_mov_b64 s[22:23], 1
	s_waitcnt lgkmcnt(0)
	s_add_u32 s20, s0, 8
	s_addc_u32 s21, s1, 0
.LBB0_2:                                ; =>This Inner Loop Header: Depth=1
	s_load_dwordx2 s[24:25], s[20:21], 0x0
                                        ; implicit-def: $vgpr44_vgpr45
	s_mov_b32 s0, exec_lo
	s_waitcnt lgkmcnt(0)
	v_or_b32_e32 v2, s25, v7
	v_cmpx_ne_u64_e32 0, v[1:2]
	s_xor_b32 s1, exec_lo, s0
	s_cbranch_execz .LBB0_4
; %bb.3:                                ;   in Loop: Header=BB0_2 Depth=1
	v_cvt_f32_u32_e32 v2, s24
	v_cvt_f32_u32_e32 v3, s25
	s_sub_u32 s0, 0, s24
	s_subb_u32 s26, 0, s25
	v_fmac_f32_e32 v2, 0x4f800000, v3
	v_rcp_f32_e32 v2, v2
	v_mul_f32_e32 v2, 0x5f7ffffc, v2
	v_mul_f32_e32 v3, 0x2f800000, v2
	v_trunc_f32_e32 v3, v3
	v_fmac_f32_e32 v2, 0xcf800000, v3
	v_cvt_u32_f32_e32 v3, v3
	v_cvt_u32_f32_e32 v2, v2
	v_mul_lo_u32 v8, s0, v3
	v_mul_hi_u32 v9, s0, v2
	v_mul_lo_u32 v10, s26, v2
	v_add_nc_u32_e32 v8, v9, v8
	v_mul_lo_u32 v9, s0, v2
	v_add_nc_u32_e32 v8, v8, v10
	v_mul_hi_u32 v10, v2, v9
	v_mul_lo_u32 v11, v2, v8
	v_mul_hi_u32 v12, v2, v8
	v_mul_hi_u32 v13, v3, v9
	v_mul_lo_u32 v9, v3, v9
	v_mul_hi_u32 v14, v3, v8
	v_mul_lo_u32 v8, v3, v8
	v_add_co_u32 v10, vcc_lo, v10, v11
	v_add_co_ci_u32_e32 v11, vcc_lo, 0, v12, vcc_lo
	v_add_co_u32 v9, vcc_lo, v10, v9
	v_add_co_ci_u32_e32 v9, vcc_lo, v11, v13, vcc_lo
	v_add_co_ci_u32_e32 v10, vcc_lo, 0, v14, vcc_lo
	v_add_co_u32 v8, vcc_lo, v9, v8
	v_add_co_ci_u32_e32 v9, vcc_lo, 0, v10, vcc_lo
	v_add_co_u32 v2, vcc_lo, v2, v8
	v_add_co_ci_u32_e32 v3, vcc_lo, v3, v9, vcc_lo
	v_mul_hi_u32 v8, s0, v2
	v_mul_lo_u32 v10, s26, v2
	v_mul_lo_u32 v9, s0, v3
	v_add_nc_u32_e32 v8, v8, v9
	v_mul_lo_u32 v9, s0, v2
	v_add_nc_u32_e32 v8, v8, v10
	v_mul_hi_u32 v10, v2, v9
	v_mul_lo_u32 v11, v2, v8
	v_mul_hi_u32 v12, v2, v8
	v_mul_hi_u32 v13, v3, v9
	v_mul_lo_u32 v9, v3, v9
	v_mul_hi_u32 v14, v3, v8
	v_mul_lo_u32 v8, v3, v8
	v_add_co_u32 v10, vcc_lo, v10, v11
	v_add_co_ci_u32_e32 v11, vcc_lo, 0, v12, vcc_lo
	v_add_co_u32 v9, vcc_lo, v10, v9
	v_add_co_ci_u32_e32 v9, vcc_lo, v11, v13, vcc_lo
	v_add_co_ci_u32_e32 v10, vcc_lo, 0, v14, vcc_lo
	v_add_co_u32 v8, vcc_lo, v9, v8
	v_add_co_ci_u32_e32 v9, vcc_lo, 0, v10, vcc_lo
	v_add_co_u32 v8, vcc_lo, v2, v8
	v_add_co_ci_u32_e32 v10, vcc_lo, v3, v9, vcc_lo
	v_mul_hi_u32 v12, v6, v8
	v_mad_u64_u32 v[8:9], null, v7, v8, 0
	v_mad_u64_u32 v[2:3], null, v6, v10, 0
	;; [unrolled: 1-line block ×3, first 2 shown]
	v_add_co_u32 v2, vcc_lo, v12, v2
	v_add_co_ci_u32_e32 v3, vcc_lo, 0, v3, vcc_lo
	v_add_co_u32 v2, vcc_lo, v2, v8
	v_add_co_ci_u32_e32 v2, vcc_lo, v3, v9, vcc_lo
	v_add_co_ci_u32_e32 v3, vcc_lo, 0, v11, vcc_lo
	v_add_co_u32 v8, vcc_lo, v2, v10
	v_add_co_ci_u32_e32 v9, vcc_lo, 0, v3, vcc_lo
	v_mul_lo_u32 v10, s25, v8
	v_mad_u64_u32 v[2:3], null, s24, v8, 0
	v_mul_lo_u32 v11, s24, v9
	v_sub_co_u32 v2, vcc_lo, v6, v2
	v_add3_u32 v3, v3, v11, v10
	v_sub_nc_u32_e32 v10, v7, v3
	v_subrev_co_ci_u32_e64 v10, s0, s25, v10, vcc_lo
	v_add_co_u32 v11, s0, v8, 2
	v_add_co_ci_u32_e64 v12, s0, 0, v9, s0
	v_sub_co_u32 v13, s0, v2, s24
	v_sub_co_ci_u32_e32 v3, vcc_lo, v7, v3, vcc_lo
	v_subrev_co_ci_u32_e64 v10, s0, 0, v10, s0
	v_cmp_le_u32_e32 vcc_lo, s24, v13
	v_cmp_eq_u32_e64 s0, s25, v3
	v_cndmask_b32_e64 v13, 0, -1, vcc_lo
	v_cmp_le_u32_e32 vcc_lo, s25, v10
	v_cndmask_b32_e64 v14, 0, -1, vcc_lo
	v_cmp_le_u32_e32 vcc_lo, s24, v2
	;; [unrolled: 2-line block ×3, first 2 shown]
	v_cndmask_b32_e64 v15, 0, -1, vcc_lo
	v_cmp_eq_u32_e32 vcc_lo, s25, v10
	v_cndmask_b32_e64 v2, v15, v2, s0
	v_cndmask_b32_e32 v10, v14, v13, vcc_lo
	v_add_co_u32 v13, vcc_lo, v8, 1
	v_add_co_ci_u32_e32 v14, vcc_lo, 0, v9, vcc_lo
	v_cmp_ne_u32_e32 vcc_lo, 0, v10
	v_cndmask_b32_e32 v3, v14, v12, vcc_lo
	v_cndmask_b32_e32 v10, v13, v11, vcc_lo
	v_cmp_ne_u32_e32 vcc_lo, 0, v2
	v_cndmask_b32_e32 v45, v9, v3, vcc_lo
	v_cndmask_b32_e32 v44, v8, v10, vcc_lo
.LBB0_4:                                ;   in Loop: Header=BB0_2 Depth=1
	s_andn2_saveexec_b32 s0, s1
	s_cbranch_execz .LBB0_6
; %bb.5:                                ;   in Loop: Header=BB0_2 Depth=1
	v_cvt_f32_u32_e32 v2, s24
	s_sub_i32 s1, 0, s24
	v_mov_b32_e32 v45, v1
	v_rcp_iflag_f32_e32 v2, v2
	v_mul_f32_e32 v2, 0x4f7ffffe, v2
	v_cvt_u32_f32_e32 v2, v2
	v_mul_lo_u32 v3, s1, v2
	v_mul_hi_u32 v3, v2, v3
	v_add_nc_u32_e32 v2, v2, v3
	v_mul_hi_u32 v2, v6, v2
	v_mul_lo_u32 v3, v2, s24
	v_add_nc_u32_e32 v8, 1, v2
	v_sub_nc_u32_e32 v3, v6, v3
	v_subrev_nc_u32_e32 v9, s24, v3
	v_cmp_le_u32_e32 vcc_lo, s24, v3
	v_cndmask_b32_e32 v3, v3, v9, vcc_lo
	v_cndmask_b32_e32 v2, v2, v8, vcc_lo
	v_cmp_le_u32_e32 vcc_lo, s24, v3
	v_add_nc_u32_e32 v8, 1, v2
	v_cndmask_b32_e32 v44, v2, v8, vcc_lo
.LBB0_6:                                ;   in Loop: Header=BB0_2 Depth=1
	s_or_b32 exec_lo, exec_lo, s0
	v_mul_lo_u32 v8, v45, s24
	v_mul_lo_u32 v9, v44, s25
	s_load_dwordx2 s[0:1], s[6:7], 0x0
	v_mad_u64_u32 v[2:3], null, v44, s24, 0
	s_load_dwordx2 s[24:25], s[2:3], 0x0
	s_add_u32 s22, s22, 1
	s_addc_u32 s23, s23, 0
	s_add_u32 s2, s2, 8
	s_addc_u32 s3, s3, 0
	s_add_u32 s6, s6, 8
	v_add3_u32 v3, v3, v9, v8
	v_sub_co_u32 v2, vcc_lo, v6, v2
	s_addc_u32 s7, s7, 0
	s_add_u32 s20, s20, 8
	v_sub_co_ci_u32_e32 v3, vcc_lo, v7, v3, vcc_lo
	s_addc_u32 s21, s21, 0
	s_waitcnt lgkmcnt(0)
	v_mul_lo_u32 v6, s0, v3
	v_mul_lo_u32 v7, s1, v2
	v_mad_u64_u32 v[4:5], null, s0, v2, v[4:5]
	v_mul_lo_u32 v3, s24, v3
	v_mul_lo_u32 v8, s25, v2
	v_mad_u64_u32 v[40:41], null, s24, v2, v[40:41]
	v_cmp_ge_u64_e64 s0, s[22:23], s[14:15]
	v_add3_u32 v5, v7, v5, v6
	v_add3_u32 v41, v8, v41, v3
	s_and_b32 vcc_lo, exec_lo, s0
	s_cbranch_vccnz .LBB0_8
; %bb.7:                                ;   in Loop: Header=BB0_2 Depth=1
	v_mov_b32_e32 v6, v44
	v_mov_b32_e32 v7, v45
	s_branch .LBB0_2
.LBB0_8:
	s_load_dwordx2 s[0:1], s[4:5], 0x28
	v_mul_hi_u32 v1, 0xccccccd, v0
	s_lshl_b64 s[2:3], s[14:15], 3
                                        ; implicit-def: $vgpr42
	s_add_u32 s18, s18, s2
	s_addc_u32 s19, s19, s3
	s_waitcnt lgkmcnt(0)
	v_cmp_gt_u64_e32 vcc_lo, s[0:1], v[44:45]
	v_cmp_le_u64_e64 s0, s[0:1], v[44:45]
	s_and_saveexec_b32 s1, s0
	s_xor_b32 s0, exec_lo, s1
; %bb.9:
	v_mul_u32_u24_e32 v1, 20, v1
                                        ; implicit-def: $vgpr4_vgpr5
	v_sub_nc_u32_e32 v42, v0, v1
                                        ; implicit-def: $vgpr1
                                        ; implicit-def: $vgpr0
; %bb.10:
	s_or_saveexec_b32 s1, s0
                                        ; implicit-def: $vgpr2_vgpr3
                                        ; implicit-def: $vgpr6_vgpr7
                                        ; implicit-def: $vgpr10_vgpr11
                                        ; implicit-def: $vgpr14_vgpr15
                                        ; implicit-def: $vgpr18_vgpr19
                                        ; implicit-def: $vgpr22_vgpr23
                                        ; implicit-def: $vgpr34_vgpr35
                                        ; implicit-def: $vgpr38_vgpr39
                                        ; implicit-def: $vgpr30_vgpr31
                                        ; implicit-def: $vgpr26_vgpr27
	s_xor_b32 exec_lo, exec_lo, s1
	s_cbranch_execz .LBB0_12
; %bb.11:
	s_add_u32 s2, s16, s2
	s_addc_u32 s3, s17, s3
	s_load_dwordx2 s[2:3], s[2:3], 0x0
	s_waitcnt lgkmcnt(0)
	v_mul_lo_u32 v6, s3, v44
	v_mul_lo_u32 v7, s2, v45
	v_mad_u64_u32 v[2:3], null, s2, v44, 0
	v_add3_u32 v3, v3, v7, v6
	v_mul_u32_u24_e32 v6, 20, v1
	v_lshlrev_b64 v[1:2], 4, v[2:3]
	v_sub_nc_u32_e32 v42, v0, v6
	v_lshlrev_b64 v[3:4], 4, v[4:5]
	v_add_co_u32 v0, s0, s8, v1
	v_add_co_ci_u32_e64 v1, s0, s9, v2, s0
	v_lshlrev_b32_e32 v2, 4, v42
	v_add_co_u32 v3, s0, v0, v3
	v_add_co_ci_u32_e64 v4, s0, v1, v4, s0
	v_or_b32_e32 v5, 0xa00, v2
	v_add_co_u32 v0, s0, v3, v2
	v_add_co_ci_u32_e64 v1, s0, 0, v4, s0
	v_add_co_u32 v2, s0, v3, v5
	v_add_co_ci_u32_e64 v3, s0, 0, v4, s0
	v_add_co_u32 v47, s0, 0x800, v0
	s_clause 0x1
	global_load_dwordx4 v[24:27], v[0:1], off
	global_load_dwordx4 v[28:31], v[0:1], off offset:320
	v_add_co_ci_u32_e64 v48, s0, 0, v1, s0
	s_clause 0x7
	global_load_dwordx4 v[36:39], v[0:1], off offset:640
	global_load_dwordx4 v[32:35], v[0:1], off offset:960
	;; [unrolled: 1-line block ×6, first 2 shown]
	global_load_dwordx4 v[4:7], v[2:3], off
	global_load_dwordx4 v[0:3], v[47:48], off offset:832
.LBB0_12:
	s_or_b32 exec_lo, exec_lo, s1
	s_waitcnt vmcnt(2)
	v_add_f64 v[47:48], v[8:9], v[16:17]
	s_waitcnt vmcnt(0)
	v_add_f64 v[49:50], v[0:1], v[32:33]
	v_add_f64 v[69:70], v[10:11], v[18:19]
	;; [unrolled: 1-line block ×3, first 2 shown]
	v_add_f64 v[75:76], v[34:35], -v[2:3]
	v_add_f64 v[51:52], v[12:13], v[20:21]
	v_add_f64 v[53:54], v[4:5], v[36:37]
	;; [unrolled: 1-line block ×3, first 2 shown]
	v_add_f64 v[83:84], v[18:19], -v[10:11]
	v_add_f64 v[85:86], v[32:33], v[28:29]
	s_mov_b32 s6, 0x134454ff
	s_mov_b32 s7, 0x3fee6f0e
	;; [unrolled: 1-line block ×4, first 2 shown]
	v_add_f64 v[57:58], v[6:7], v[38:39]
	v_add_f64 v[77:78], v[32:33], -v[16:17]
	v_add_f64 v[79:80], v[0:1], -v[8:9]
	;; [unrolled: 1-line block ×5, first 2 shown]
	v_add_f64 v[59:60], v[36:37], v[24:25]
	v_mul_hi_u32 v43, 0xaaaaaaab, v46
	v_fma_f64 v[47:48], v[47:48], -0.5, v[28:29]
	v_fma_f64 v[28:29], v[49:50], -0.5, v[28:29]
	v_add_f64 v[49:50], v[34:35], v[30:31]
	v_fma_f64 v[69:70], v[69:70], -0.5, v[30:31]
	v_fma_f64 v[30:31], v[71:72], -0.5, v[30:31]
	v_add_f64 v[71:72], v[16:17], -v[8:9]
	v_fma_f64 v[51:52], v[51:52], -0.5, v[24:25]
	v_fma_f64 v[24:25], v[53:54], -0.5, v[24:25]
	;; [unrolled: 1-line block ×3, first 2 shown]
	v_lshrrev_b32_e32 v43, 1, v43
	s_mov_b32 s14, 0x4755a5e
	s_mov_b32 s15, 0x3fe2cf23
	;; [unrolled: 1-line block ×4, first 2 shown]
	v_lshl_add_u32 v43, v43, 1, v43
	v_add_f64 v[61:62], v[38:39], v[26:27]
	v_add_f64 v[63:64], v[38:39], -v[6:7]
	v_add_f64 v[87:88], v[34:35], -v[18:19]
	v_fma_f64 v[26:27], v[57:58], -0.5, v[26:27]
	v_add_f64 v[57:58], v[2:3], -v[10:11]
	v_sub_nc_u32_e32 v43, v46, v43
	v_add_f64 v[77:78], v[79:80], v[77:78]
	v_fma_f64 v[91:92], v[75:76], s[6:7], v[47:48]
	v_fma_f64 v[47:48], v[75:76], s[2:3], v[47:48]
	;; [unrolled: 1-line block ×4, first 2 shown]
	v_add_f64 v[79:80], v[89:90], v[81:82]
	v_fma_f64 v[81:82], v[32:33], s[2:3], v[69:70]
	v_fma_f64 v[69:70], v[32:33], s[6:7], v[69:70]
	;; [unrolled: 1-line block ×4, first 2 shown]
	v_add_f64 v[34:35], v[18:19], -v[34:35]
	v_add_f64 v[93:94], v[10:11], -v[2:3]
	s_mov_b32 s8, 0x372fe950
	s_mov_b32 s9, 0x3fd3c6ef
	v_add_f64 v[65:66], v[36:37], -v[20:21]
	v_add_f64 v[67:68], v[20:21], -v[36:37]
	;; [unrolled: 1-line block ×3, first 2 shown]
	v_add_f64 v[16:17], v[16:17], v[85:86]
	s_mov_b32 s16, 0x9b97f4a8
	s_mov_b32 s17, 0x3fe9e377
	v_add_f64 v[57:58], v[57:58], v[87:88]
	v_add_f64 v[87:88], v[4:5], -v[12:13]
	v_add_f64 v[73:74], v[38:39], -v[22:23]
	v_fma_f64 v[91:92], v[83:84], s[14:15], v[91:92]
	v_fma_f64 v[46:47], v[83:84], s[4:5], v[47:48]
	v_add_f64 v[83:84], v[22:23], -v[14:15]
	v_fma_f64 v[55:56], v[75:76], s[14:15], v[55:56]
	v_fma_f64 v[28:29], v[75:76], s[4:5], v[28:29]
	v_add_f64 v[75:76], v[20:21], -v[12:13]
	v_add_f64 v[20:21], v[20:21], v[59:60]
	v_fma_f64 v[59:60], v[71:72], s[4:5], v[81:82]
	v_fma_f64 v[69:70], v[71:72], s[14:15], v[69:70]
	;; [unrolled: 1-line block ×5, first 2 shown]
	v_add_f64 v[34:35], v[93:94], v[34:35]
	v_add_f64 v[93:94], v[12:13], -v[4:5]
	v_fma_f64 v[51:52], v[63:64], s[2:3], v[51:52]
	v_add_f64 v[38:39], v[22:23], -v[38:39]
	v_add_f64 v[22:23], v[22:23], v[61:62]
	v_add_f64 v[18:19], v[18:19], v[49:50]
	v_fma_f64 v[48:49], v[36:37], s[6:7], v[53:54]
	v_add_f64 v[8:9], v[8:9], v[16:17]
	v_add_f64 v[61:62], v[87:88], v[65:66]
	s_load_dwordx2 s[18:19], s[18:19], 0x0
	v_fma_f64 v[85:86], v[77:78], s[8:9], v[91:92]
	v_fma_f64 v[46:47], v[77:78], s[8:9], v[46:47]
	;; [unrolled: 1-line block ×6, first 2 shown]
	v_add_f64 v[12:13], v[12:13], v[20:21]
	v_fma_f64 v[20:21], v[36:37], s[2:3], v[53:54]
	v_fma_f64 v[53:54], v[75:76], s[6:7], v[26:27]
	;; [unrolled: 1-line block ×3, first 2 shown]
	v_add_f64 v[77:78], v[6:7], -v[14:15]
	v_fma_f64 v[26:27], v[75:76], s[2:3], v[26:27]
	v_fma_f64 v[30:31], v[34:35], s[8:9], v[30:31]
	v_add_f64 v[65:66], v[93:94], v[67:68]
	v_fma_f64 v[50:51], v[83:84], s[4:5], v[51:52]
	v_fma_f64 v[34:35], v[34:35], s[8:9], v[81:82]
	v_add_f64 v[79:80], v[14:15], -v[6:7]
	v_add_f64 v[14:15], v[14:15], v[22:23]
	v_add_f64 v[10:11], v[10:11], v[18:19]
	v_fma_f64 v[18:19], v[75:76], s[14:15], v[48:49]
	v_add_f64 v[8:9], v[0:1], v[8:9]
	v_mul_u32_u24_e32 v0, 0xc8, v43
	v_cmp_gt_u32_e64 s0, 10, v42
	v_mul_f64 v[71:72], v[46:47], s[16:17]
	v_fma_f64 v[32:33], v[63:64], s[14:15], v[32:33]
	v_fma_f64 v[24:25], v[63:64], s[4:5], v[24:25]
	;; [unrolled: 1-line block ×4, first 2 shown]
	v_mul_f64 v[59:60], v[85:86], s[16:17]
	v_mul_f64 v[67:68], v[55:56], s[8:9]
	;; [unrolled: 1-line block ×3, first 2 shown]
	v_add_f64 v[4:5], v[4:5], v[12:13]
	v_fma_f64 v[12:13], v[75:76], s[4:5], v[20:21]
	v_fma_f64 v[20:21], v[36:37], s[4:5], v[53:54]
	;; [unrolled: 1-line block ×3, first 2 shown]
	v_mul_f64 v[48:49], v[55:56], s[2:3]
	v_add_f64 v[73:74], v[77:78], v[73:74]
	v_fma_f64 v[22:23], v[36:37], s[14:15], v[26:27]
	v_fma_f64 v[26:27], v[61:62], s[8:9], v[50:51]
	v_mul_f64 v[50:51], v[30:31], s[8:9]
	v_add_f64 v[38:39], v[79:80], v[38:39]
	v_mul_f64 v[36:37], v[85:86], s[4:5]
	v_lshlrev_b32_e32 v0, 3, v0
	v_fma_f64 v[32:33], v[65:66], s[8:9], v[32:33]
	v_fma_f64 v[24:25], v[65:66], s[8:9], v[24:25]
	v_fma_f64 v[61:62], v[63:64], s[14:15], -v[71:72]
	v_mul_f64 v[52:53], v[63:64], s[16:17]
	v_fma_f64 v[54:55], v[57:58], s[14:15], v[59:60]
	v_fma_f64 v[59:60], v[34:35], s[6:7], v[67:68]
	v_fma_f64 v[30:31], v[30:31], s[6:7], -v[69:70]
	v_add_f64 v[63:64], v[6:7], v[14:15]
	v_add_f64 v[65:66], v[2:3], v[10:11]
	;; [unrolled: 1-line block ×3, first 2 shown]
	v_add_f64 v[7:8], v[4:5], -v[8:9]
	v_add_nc_u32_e32 v43, 0, v0
	v_fma_f64 v[67:68], v[73:74], s[8:9], v[12:13]
	v_fma_f64 v[69:70], v[73:74], s[8:9], v[18:19]
	;; [unrolled: 1-line block ×6, first 2 shown]
	v_fma_f64 v[48:49], v[28:29], s[2:3], -v[50:51]
	v_mul_u32_u24_e32 v23, 10, v42
	v_add_f64 v[5:6], v[26:27], v[61:62]
	v_add_f64 v[19:20], v[26:27], -v[61:62]
	v_add_f64 v[3:4], v[16:17], v[54:55]
	v_add_f64 v[9:10], v[32:33], v[59:60]
	;; [unrolled: 1-line block ×3, first 2 shown]
	v_add_f64 v[13:14], v[16:17], -v[54:55]
	v_add_f64 v[15:16], v[32:33], -v[59:60]
	;; [unrolled: 1-line block ×3, first 2 shown]
	v_fma_f64 v[50:51], v[46:47], s[4:5], -v[52:53]
	v_lshl_add_u32 v52, v23, 3, v43
	v_add_f64 v[24:25], v[65:66], v[63:64]
	v_add_f64 v[30:31], v[63:64], -v[65:66]
	v_lshl_add_u32 v23, v42, 3, v43
	ds_write_b128 v52, v[1:4]
	ds_write_b128 v52, v[9:12] offset:16
	ds_write_b128 v52, v[5:8] offset:32
	;; [unrolled: 1-line block ×4, first 2 shown]
	v_add_nc_u32_e32 v1, -10, v42
	v_add_f64 v[26:27], v[67:68], v[36:37]
	v_add_f64 v[34:35], v[21:22], v[48:49]
	v_add_f64 v[46:47], v[21:22], -v[48:49]
	v_add_f64 v[48:49], v[69:70], -v[50:51]
	v_cndmask_b32_e64 v1, v1, v42, s0
	v_add_f64 v[32:33], v[71:72], v[38:39]
	v_add_f64 v[28:29], v[69:70], v[50:51]
	v_add_f64 v[36:37], v[67:68], -v[36:37]
	v_add_f64 v[38:39], v[71:72], -v[38:39]
	v_mul_i32_i24_e32 v16, 9, v1
	v_mov_b32_e32 v17, 0
	v_mad_i32_i24 v22, 0xffffffb8, v42, v52
	s_waitcnt lgkmcnt(0)
	s_barrier
	buffer_gl0_inv
	v_lshlrev_b64 v[50:51], 4, v[16:17]
	ds_read2_b64 v[2:5], v22 offset0:20 offset1:40
	ds_read2_b64 v[6:9], v22 offset0:60 offset1:80
	;; [unrolled: 1-line block ×4, first 2 shown]
	ds_read_b64 v[14:15], v23
	ds_read_b64 v[78:79], v22 offset:1440
	s_waitcnt lgkmcnt(0)
	s_barrier
	buffer_gl0_inv
	v_add_co_u32 v62, s0, s12, v50
	v_add_co_ci_u32_e64 v63, s0, s13, v51, s0
	ds_write_b128 v52, v[24:27]
	ds_write_b128 v52, v[32:35] offset:16
	ds_write_b128 v52, v[28:31] offset:32
	;; [unrolled: 1-line block ×4, first 2 shown]
	s_waitcnt lgkmcnt(0)
	s_barrier
	buffer_gl0_inv
	s_clause 0x8
	global_load_dwordx4 v[24:27], v[62:63], off offset:128
	global_load_dwordx4 v[28:31], v[62:63], off offset:32
	;; [unrolled: 1-line block ×8, first 2 shown]
	global_load_dwordx4 v[62:65], v[62:63], off
	ds_read_b64 v[80:81], v22 offset:1440
	ds_read2_b64 v[66:69], v22 offset0:60 offset1:80
	ds_read2_b64 v[70:73], v22 offset0:100 offset1:120
	ds_read_b64 v[82:83], v23
	ds_read2_b64 v[74:77], v22 offset0:140 offset1:160
	v_lshlrev_b32_e32 v43, 3, v1
	v_cmp_lt_u32_e64 s0, 9, v42
	v_cndmask_b32_e64 v16, 0, 0x320, s0
	v_add_nc_u32_e32 v16, 0, v16
	v_add3_u32 v16, v16, v43, v0
	s_waitcnt vmcnt(8) lgkmcnt(4)
	v_mul_f64 v[84:85], v[80:81], v[26:27]
	v_mul_f64 v[26:27], v[78:79], v[26:27]
	s_waitcnt vmcnt(7) lgkmcnt(3)
	v_mul_f64 v[86:87], v[66:67], v[30:31]
	v_mul_f64 v[30:31], v[6:7], v[30:31]
	;; [unrolled: 3-line block ×3, first 2 shown]
	v_fma_f64 v[78:79], v[78:79], v[24:25], -v[84:85]
	s_waitcnt vmcnt(5) lgkmcnt(0)
	v_mul_f64 v[84:85], v[74:75], v[38:39]
	v_mul_f64 v[38:39], v[18:19], v[38:39]
	v_fma_f64 v[80:81], v[80:81], v[24:25], v[26:27]
	ds_read2_b64 v[24:27], v22 offset0:20 offset1:40
	v_fma_f64 v[6:7], v[6:7], v[28:29], -v[86:87]
	v_fma_f64 v[28:29], v[66:67], v[28:29], v[30:31]
	s_waitcnt vmcnt(4)
	v_mul_f64 v[30:31], v[68:69], v[48:49]
	s_waitcnt vmcnt(3)
	v_mul_f64 v[66:67], v[72:73], v[52:53]
	v_fma_f64 v[10:11], v[10:11], v[32:33], -v[88:89]
	v_fma_f64 v[32:33], v[70:71], v[32:33], v[34:35]
	s_waitcnt vmcnt(1)
	v_mul_f64 v[70:71], v[76:77], v[60:61]
	s_waitcnt vmcnt(0) lgkmcnt(0)
	s_barrier
	buffer_gl0_inv
	v_fma_f64 v[18:19], v[18:19], v[36:37], -v[84:85]
	v_mul_f64 v[34:35], v[26:27], v[56:57]
	v_fma_f64 v[36:37], v[74:75], v[36:37], v[38:39]
	v_mul_f64 v[38:39], v[24:25], v[64:65]
	v_mul_f64 v[64:65], v[2:3], v[64:65]
	v_add_f64 v[74:75], v[6:7], -v[78:79]
	v_fma_f64 v[30:31], v[8:9], v[46:47], -v[30:31]
	v_mul_f64 v[8:9], v[8:9], v[48:49]
	v_mul_f64 v[48:49], v[4:5], v[56:57]
	v_fma_f64 v[56:57], v[12:13], v[50:51], -v[66:67]
	v_mul_f64 v[12:13], v[12:13], v[52:53]
	v_mul_f64 v[52:53], v[20:21], v[60:61]
	v_fma_f64 v[20:21], v[20:21], v[58:59], -v[70:71]
	v_add_f64 v[60:61], v[6:7], v[78:79]
	v_add_f64 v[66:67], v[10:11], -v[6:7]
	v_add_f64 v[84:85], v[28:29], -v[32:33]
	;; [unrolled: 1-line block ×4, first 2 shown]
	v_fma_f64 v[4:5], v[4:5], v[54:55], -v[34:35]
	v_add_f64 v[34:35], v[32:33], v[36:37]
	v_fma_f64 v[2:3], v[2:3], v[62:63], -v[38:39]
	v_fma_f64 v[24:25], v[24:25], v[62:63], v[64:65]
	v_add_f64 v[38:39], v[28:29], v[80:81]
	v_add_f64 v[62:63], v[10:11], v[18:19]
	v_fma_f64 v[8:9], v[68:69], v[46:47], v[8:9]
	v_fma_f64 v[26:27], v[26:27], v[54:55], v[48:49]
	v_add_f64 v[64:65], v[78:79], -v[18:19]
	v_fma_f64 v[12:13], v[72:73], v[50:51], v[12:13]
	v_fma_f64 v[46:47], v[76:77], v[58:59], v[52:53]
	v_add_f64 v[50:51], v[20:21], -v[56:57]
	v_add_f64 v[54:55], v[56:57], -v[20:21]
	;; [unrolled: 1-line block ×8, first 2 shown]
	v_add_f64 v[92:93], v[30:31], v[56:57]
	v_add_f64 v[48:49], v[4:5], -v[30:31]
	v_add_f64 v[52:53], v[30:31], -v[4:5]
	v_fma_f64 v[60:61], v[60:61], -0.5, v[2:3]
	v_fma_f64 v[34:35], v[34:35], -0.5, v[24:25]
	;; [unrolled: 1-line block ×4, first 2 shown]
	v_add_f64 v[94:95], v[4:5], v[20:21]
	v_add_f64 v[2:3], v[2:3], v[6:7]
	;; [unrolled: 1-line block ×8, first 2 shown]
	v_add_f64 v[90:91], v[26:27], -v[46:47]
	v_fma_f64 v[92:93], v[92:93], -0.5, v[14:15]
	v_add_f64 v[48:49], v[48:49], v[50:51]
	v_add_f64 v[50:51], v[52:53], v[54:55]
	;; [unrolled: 1-line block ×3, first 2 shown]
	v_fma_f64 v[58:59], v[74:75], s[2:3], v[34:35]
	v_add_f64 v[54:55], v[66:67], v[68:69]
	v_fma_f64 v[64:65], v[70:71], s[6:7], v[38:39]
	v_fma_f64 v[66:67], v[72:73], s[6:7], v[60:61]
	;; [unrolled: 1-line block ×4, first 2 shown]
	v_fma_f64 v[14:15], v[94:95], -0.5, v[14:15]
	v_fma_f64 v[60:61], v[72:73], s[2:3], v[60:61]
	v_add_f64 v[94:95], v[8:9], -v[12:13]
	v_fma_f64 v[34:35], v[74:75], s[6:7], v[34:35]
	v_fma_f64 v[38:39], v[70:71], s[2:3], v[38:39]
	v_fma_f64 v[6:7], v[6:7], -0.5, v[82:83]
	v_fma_f64 v[28:29], v[28:29], -0.5, v[82:83]
	v_add_f64 v[82:83], v[82:83], v[26:27]
	v_add_f64 v[2:3], v[2:3], v[10:11]
	;; [unrolled: 1-line block ×3, first 2 shown]
	v_add_f64 v[4:5], v[4:5], -v[20:21]
	v_add_f64 v[30:31], v[30:31], -v[56:57]
	;; [unrolled: 1-line block ×4, first 2 shown]
	v_add_f64 v[24:25], v[24:25], v[32:33]
	v_fma_f64 v[58:59], v[70:71], s[4:5], v[58:59]
	v_fma_f64 v[64:65], v[74:75], s[4:5], v[64:65]
	;; [unrolled: 1-line block ×12, first 2 shown]
	v_add_f64 v[70:71], v[46:47], -v[12:13]
	v_add_f64 v[74:75], v[12:13], -v[46:47]
	v_add_f64 v[8:9], v[82:83], v[8:9]
	v_add_f64 v[32:33], v[86:87], v[56:57]
	v_fma_f64 v[56:57], v[4:5], s[2:3], v[6:7]
	v_fma_f64 v[6:7], v[4:5], s[6:7], v[6:7]
	;; [unrolled: 1-line block ×4, first 2 shown]
	v_add_f64 v[2:3], v[2:3], v[18:19]
	v_fma_f64 v[58:59], v[84:85], s[8:9], v[58:59]
	v_fma_f64 v[64:65], v[88:89], s[8:9], v[64:65]
	;; [unrolled: 1-line block ×12, first 2 shown]
	v_add_f64 v[10:11], v[10:11], v[70:71]
	v_add_f64 v[26:27], v[26:27], v[74:75]
	;; [unrolled: 1-line block ×5, first 2 shown]
	v_fma_f64 v[24:25], v[30:31], s[4:5], v[56:57]
	v_fma_f64 v[6:7], v[30:31], s[14:15], v[6:7]
	;; [unrolled: 1-line block ×4, first 2 shown]
	v_mul_f64 v[60:61], v[58:59], s[14:15]
	v_add_f64 v[2:3], v[2:3], v[78:79]
	v_mul_f64 v[62:63], v[64:65], s[6:7]
	v_mul_f64 v[84:85], v[66:67], s[8:9]
	v_mul_f64 v[86:87], v[68:69], s[16:17]
	v_mul_f64 v[36:37], v[52:53], s[4:5]
	v_fma_f64 v[18:19], v[48:49], s[8:9], v[18:19]
	v_fma_f64 v[28:29], v[48:49], s[8:9], v[72:73]
	v_mul_f64 v[48:49], v[54:55], s[2:3]
	v_fma_f64 v[32:33], v[50:51], s[8:9], v[76:77]
	v_mul_f64 v[70:71], v[34:35], s[16:17]
	v_mul_f64 v[56:57], v[38:39], s[8:9]
	v_fma_f64 v[14:15], v[50:51], s[8:9], v[14:15]
	v_add_f64 v[8:9], v[8:9], v[46:47]
	v_add_f64 v[12:13], v[12:13], v[80:81]
	v_fma_f64 v[24:25], v[10:11], s[8:9], v[24:25]
	v_fma_f64 v[6:7], v[10:11], s[8:9], v[6:7]
	;; [unrolled: 1-line block ×5, first 2 shown]
	v_add_f64 v[26:27], v[20:21], v[2:3]
	v_fma_f64 v[52:53], v[54:55], s[8:9], v[62:63]
	v_fma_f64 v[38:39], v[38:39], s[6:7], -v[84:85]
	v_fma_f64 v[34:35], v[34:35], s[14:15], -v[86:87]
	v_fma_f64 v[30:31], v[58:59], s[16:17], v[36:37]
	v_add_f64 v[1:2], v[20:21], -v[2:3]
	v_fma_f64 v[36:37], v[64:65], s[8:9], v[48:49]
	v_fma_f64 v[48:49], v[68:69], s[4:5], -v[70:71]
	v_fma_f64 v[46:47], v[66:67], s[2:3], -v[56:57]
	v_add_f64 v[20:21], v[18:19], v[50:51]
	v_add_f64 v[18:19], v[18:19], -v[50:51]
	v_add_f64 v[54:55], v[32:33], v[52:53]
	v_add_f64 v[56:57], v[14:15], v[38:39]
	;; [unrolled: 1-line block ×3, first 2 shown]
	v_add_f64 v[32:33], v[32:33], -v[52:53]
	v_add_f64 v[14:15], v[14:15], -v[38:39]
	;; [unrolled: 1-line block ×3, first 2 shown]
	v_add_f64 v[34:35], v[8:9], v[12:13]
	v_add_f64 v[38:39], v[8:9], -v[12:13]
	v_add_f64 v[50:51], v[24:25], v[30:31]
	v_add_f64 v[52:53], v[10:11], v[36:37]
	;; [unrolled: 1-line block ×4, first 2 shown]
	v_add_f64 v[24:25], v[24:25], -v[30:31]
	v_add_f64 v[30:31], v[10:11], -v[36:37]
	;; [unrolled: 1-line block ×4, first 2 shown]
	ds_write2_b64 v16, v[26:27], v[20:21] offset1:10
	ds_write2_b64 v16, v[54:55], v[56:57] offset0:20 offset1:30
	ds_write2_b64 v16, v[58:59], v[1:2] offset0:40 offset1:50
	;; [unrolled: 1-line block ×4, first 2 shown]
	s_waitcnt lgkmcnt(0)
	s_barrier
	buffer_gl0_inv
	ds_read2_b64 v[12:15], v22 offset0:100 offset1:120
	ds_read2_b64 v[4:7], v22 offset0:20 offset1:40
	;; [unrolled: 1-line block ×4, first 2 shown]
	ds_read_b64 v[18:19], v23
	ds_read_b64 v[20:21], v22 offset:1440
	s_waitcnt lgkmcnt(0)
	s_barrier
	buffer_gl0_inv
	ds_write2_b64 v16, v[34:35], v[50:51] offset1:10
	ds_write2_b64 v16, v[52:53], v[60:61] offset0:20 offset1:30
	ds_write2_b64 v16, v[62:63], v[38:39] offset0:40 offset1:50
	;; [unrolled: 1-line block ×4, first 2 shown]
	s_waitcnt lgkmcnt(0)
	s_barrier
	buffer_gl0_inv
	s_and_saveexec_b32 s0, vcc_lo
	s_cbranch_execz .LBB0_14
; %bb.13:
	v_mov_b32_e32 v43, v17
	v_mul_lo_u32 v16, s19, v44
	v_mul_lo_u32 v45, s18, v45
	v_mul_hi_u32 v66, 0x51eb851f, v42
	v_add_nc_u32_e32 v70, 20, v42
	v_lshlrev_b64 v[24:25], 4, v[42:43]
	v_mad_u64_u32 v[43:44], null, s18, v44, 0
	v_add_nc_u32_e32 v71, 40, v42
	v_add_nc_u32_e32 v72, 60, v42
	;; [unrolled: 1-line block ×3, first 2 shown]
	v_add_co_u32 v32, vcc_lo, s12, v24
	v_add_co_ci_u32_e32 v33, vcc_lo, s13, v25, vcc_lo
	v_mul_hi_u32 v74, 0x51eb851f, v70
	v_add_co_u32 v46, vcc_lo, 0x800, v32
	s_clause 0x1
	global_load_dwordx4 v[24:27], v[32:33], off offset:1760
	global_load_dwordx4 v[28:31], v[32:33], off offset:1440
	v_add_co_ci_u32_e32 v47, vcc_lo, 0, v33, vcc_lo
	v_mul_hi_u32 v75, 0x51eb851f, v71
	v_mul_hi_u32 v76, 0x51eb851f, v72
	s_clause 0x2
	global_load_dwordx4 v[32:35], v[46:47], off offset:352
	global_load_dwordx4 v[36:39], v[46:47], off offset:32
	;; [unrolled: 1-line block ×3, first 2 shown]
	ds_read2_b64 v[50:53], v22 offset0:100 offset1:120
	v_lshrrev_b32_e32 v78, 5, v66
	v_add3_u32 v44, v44, v45, v16
	v_mul_hi_u32 v77, 0x51eb851f, v73
	ds_read2_b64 v[54:57], v22 offset0:60 offset1:80
	ds_read2_b64 v[58:61], v22 offset0:140 offset1:160
	;; [unrolled: 1-line block ×3, first 2 shown]
	ds_read_b64 v[66:67], v22 offset:1440
	ds_read_b64 v[68:69], v23
	v_lshlrev_b64 v[22:23], 4, v[40:41]
	v_mul_lo_u32 v16, 0x64, v78
	v_lshrrev_b32_e32 v45, 5, v74
	v_lshrrev_b32_e32 v74, 5, v75
	;; [unrolled: 1-line block ×3, first 2 shown]
	v_lshlrev_b64 v[40:41], 4, v[43:44]
	v_lshrrev_b32_e32 v83, 5, v77
	v_mul_lo_u32 v44, 0x64, v45
	v_mul_lo_u32 v75, 0x64, v74
	;; [unrolled: 1-line block ×3, first 2 shown]
	v_sub_nc_u32_e32 v16, v42, v16
	v_add_co_u32 v78, vcc_lo, s10, v40
	v_add_co_ci_u32_e32 v79, vcc_lo, s11, v41, vcc_lo
	v_mul_lo_u32 v77, 0x64, v83
	v_add_co_u32 v84, vcc_lo, v78, v22
	v_add_co_ci_u32_e32 v85, vcc_lo, v79, v23, vcc_lo
	v_lshlrev_b32_e32 v78, 4, v16
	v_sub_nc_u32_e32 v22, v71, v75
	v_sub_nc_u32_e32 v23, v72, v76
	v_sub_nc_u32_e32 v16, v70, v44
	v_sub_nc_u32_e32 v44, v73, v77
	v_mad_u64_u32 v[72:73], null, 0xc8, v74, v[22:23]
	v_add_co_u32 v74, vcc_lo, v84, v78
	v_mad_u64_u32 v[70:71], null, 0xc8, v45, v[16:17]
	v_mov_b32_e32 v71, v17
	v_mov_b32_e32 v73, v17
	v_add_co_ci_u32_e32 v75, vcc_lo, 0, v85, vcc_lo
	v_mad_u64_u32 v[44:45], null, 0xc8, v83, v[44:45]
	v_add_nc_u32_e32 v16, 0x64, v70
	v_mov_b32_e32 v45, v17
	s_waitcnt vmcnt(4)
	v_mul_f64 v[40:41], v[14:15], v[26:27]
	s_waitcnt vmcnt(3)
	v_mul_f64 v[42:43], v[12:13], v[30:31]
	s_waitcnt lgkmcnt(5)
	v_mul_f64 v[30:31], v[50:51], v[30:31]
	v_mul_f64 v[26:27], v[52:53], v[26:27]
	s_waitcnt vmcnt(2)
	v_mul_f64 v[76:77], v[10:11], v[34:35]
	s_waitcnt vmcnt(1)
	v_mul_f64 v[78:79], v[8:9], v[38:39]
	s_waitcnt lgkmcnt(3)
	v_mul_f64 v[38:39], v[58:59], v[38:39]
	v_mul_f64 v[34:35], v[60:61], v[34:35]
	s_waitcnt vmcnt(0)
	v_mul_f64 v[80:81], v[20:21], v[48:49]
	s_waitcnt lgkmcnt(1)
	v_mul_f64 v[48:49], v[66:67], v[48:49]
	v_fma_f64 v[40:41], v[52:53], v[24:25], v[40:41]
	v_fma_f64 v[42:43], v[50:51], v[28:29], v[42:43]
	v_fma_f64 v[12:13], v[12:13], v[28:29], -v[30:31]
	v_mad_u64_u32 v[50:51], null, 0xc8, v82, v[23:24]
	v_fma_f64 v[24:25], v[14:15], v[24:25], -v[26:27]
	v_fma_f64 v[26:27], v[60:61], v[32:33], v[76:77]
	v_fma_f64 v[30:31], v[58:59], v[36:37], v[78:79]
	v_fma_f64 v[36:37], v[8:9], v[36:37], -v[38:39]
	v_fma_f64 v[32:33], v[10:11], v[32:33], -v[34:35]
	v_fma_f64 v[34:35], v[66:67], v[46:47], v[80:81]
	v_fma_f64 v[38:39], v[20:21], v[46:47], -v[48:49]
	v_lshlrev_b64 v[22:23], 4, v[70:71]
	v_mov_b32_e32 v51, v17
	v_lshlrev_b64 v[52:53], 4, v[72:73]
	v_lshlrev_b64 v[70:71], 4, v[16:17]
	v_add_nc_u32_e32 v16, 0x64, v72
	v_lshlrev_b64 v[72:73], 4, v[44:45]
	v_lshlrev_b64 v[28:29], 4, v[50:51]
	v_add_co_u32 v48, vcc_lo, v84, v22
	v_add_co_ci_u32_e32 v49, vcc_lo, v85, v23, vcc_lo
	s_waitcnt lgkmcnt(0)
	v_add_f64 v[14:15], v[68:69], -v[42:43]
	v_add_f64 v[12:13], v[18:19], -v[12:13]
	;; [unrolled: 1-line block ×3, first 2 shown]
	v_add_co_u32 v51, vcc_lo, v84, v52
	v_add_f64 v[8:9], v[4:5], -v[24:25]
	v_add_co_ci_u32_e32 v52, vcc_lo, v85, v53, vcc_lo
	v_add_f64 v[22:23], v[54:55], -v[26:27]
	v_add_f64 v[26:27], v[64:65], -v[30:31]
	;; [unrolled: 1-line block ×3, first 2 shown]
	v_add_co_u32 v58, vcc_lo, v84, v28
	v_add_f64 v[20:21], v[0:1], -v[32:33]
	v_add_co_ci_u32_e32 v59, vcc_lo, v85, v29, vcc_lo
	v_add_f64 v[30:31], v[56:57], -v[34:35]
	v_add_f64 v[28:29], v[2:3], -v[38:39]
	v_lshlrev_b64 v[66:67], 4, v[16:17]
	v_add_nc_u32_e32 v16, 0x64, v50
	v_add_co_u32 v60, vcc_lo, v84, v72
	v_fma_f64 v[38:39], v[68:69], 2.0, -v[14:15]
	v_fma_f64 v[36:37], v[18:19], 2.0, -v[12:13]
	;; [unrolled: 1-line block ×3, first 2 shown]
	v_add_co_ci_u32_e32 v61, vcc_lo, v85, v73, vcc_lo
	v_fma_f64 v[32:33], v[4:5], 2.0, -v[8:9]
	v_lshlrev_b64 v[72:73], 4, v[16:17]
	v_add_nc_u32_e32 v16, 0x64, v44
	v_fma_f64 v[42:43], v[54:55], 2.0, -v[22:23]
	v_fma_f64 v[46:47], v[64:65], 2.0, -v[26:27]
	;; [unrolled: 1-line block ×3, first 2 shown]
	v_add_co_u32 v70, vcc_lo, v84, v70
	v_fma_f64 v[40:41], v[0:1], 2.0, -v[20:21]
	v_add_co_ci_u32_e32 v71, vcc_lo, v85, v71, vcc_lo
	v_fma_f64 v[4:5], v[56:57], 2.0, -v[30:31]
	v_fma_f64 v[2:3], v[2:3], 2.0, -v[28:29]
	v_add_co_u32 v0, vcc_lo, v84, v66
	v_lshlrev_b64 v[6:7], 4, v[16:17]
	v_add_co_ci_u32_e32 v1, vcc_lo, v85, v67, vcc_lo
	v_add_co_u32 v16, vcc_lo, v84, v72
	v_add_co_ci_u32_e32 v17, vcc_lo, v85, v73, vcc_lo
	v_add_co_u32 v6, vcc_lo, v84, v6
	v_add_co_ci_u32_e32 v7, vcc_lo, v85, v7, vcc_lo
	global_store_dwordx4 v[74:75], v[12:15], off offset:1600
	global_store_dwordx4 v[74:75], v[36:39], off
	global_store_dwordx4 v[48:49], v[32:35], off
	;; [unrolled: 1-line block ×9, first 2 shown]
.LBB0_14:
	s_endpgm
	.section	.rodata,"a",@progbits
	.p2align	6, 0x0
	.amdhsa_kernel fft_rtc_fwd_len200_factors_10_10_2_wgs_60_tpt_20_halfLds_dp_op_CI_CI_unitstride_sbrr_dirReg
		.amdhsa_group_segment_fixed_size 0
		.amdhsa_private_segment_fixed_size 0
		.amdhsa_kernarg_size 104
		.amdhsa_user_sgpr_count 6
		.amdhsa_user_sgpr_private_segment_buffer 1
		.amdhsa_user_sgpr_dispatch_ptr 0
		.amdhsa_user_sgpr_queue_ptr 0
		.amdhsa_user_sgpr_kernarg_segment_ptr 1
		.amdhsa_user_sgpr_dispatch_id 0
		.amdhsa_user_sgpr_flat_scratch_init 0
		.amdhsa_user_sgpr_private_segment_size 0
		.amdhsa_wavefront_size32 1
		.amdhsa_uses_dynamic_stack 0
		.amdhsa_system_sgpr_private_segment_wavefront_offset 0
		.amdhsa_system_sgpr_workgroup_id_x 1
		.amdhsa_system_sgpr_workgroup_id_y 0
		.amdhsa_system_sgpr_workgroup_id_z 0
		.amdhsa_system_sgpr_workgroup_info 0
		.amdhsa_system_vgpr_workitem_id 0
		.amdhsa_next_free_vgpr 96
		.amdhsa_next_free_sgpr 27
		.amdhsa_reserve_vcc 1
		.amdhsa_reserve_flat_scratch 0
		.amdhsa_float_round_mode_32 0
		.amdhsa_float_round_mode_16_64 0
		.amdhsa_float_denorm_mode_32 3
		.amdhsa_float_denorm_mode_16_64 3
		.amdhsa_dx10_clamp 1
		.amdhsa_ieee_mode 1
		.amdhsa_fp16_overflow 0
		.amdhsa_workgroup_processor_mode 1
		.amdhsa_memory_ordered 1
		.amdhsa_forward_progress 0
		.amdhsa_shared_vgpr_count 0
		.amdhsa_exception_fp_ieee_invalid_op 0
		.amdhsa_exception_fp_denorm_src 0
		.amdhsa_exception_fp_ieee_div_zero 0
		.amdhsa_exception_fp_ieee_overflow 0
		.amdhsa_exception_fp_ieee_underflow 0
		.amdhsa_exception_fp_ieee_inexact 0
		.amdhsa_exception_int_div_zero 0
	.end_amdhsa_kernel
	.text
.Lfunc_end0:
	.size	fft_rtc_fwd_len200_factors_10_10_2_wgs_60_tpt_20_halfLds_dp_op_CI_CI_unitstride_sbrr_dirReg, .Lfunc_end0-fft_rtc_fwd_len200_factors_10_10_2_wgs_60_tpt_20_halfLds_dp_op_CI_CI_unitstride_sbrr_dirReg
                                        ; -- End function
	.section	.AMDGPU.csdata,"",@progbits
; Kernel info:
; codeLenInByte = 6016
; NumSgprs: 29
; NumVgprs: 96
; ScratchSize: 0
; MemoryBound: 1
; FloatMode: 240
; IeeeMode: 1
; LDSByteSize: 0 bytes/workgroup (compile time only)
; SGPRBlocks: 3
; VGPRBlocks: 11
; NumSGPRsForWavesPerEU: 29
; NumVGPRsForWavesPerEU: 96
; Occupancy: 10
; WaveLimiterHint : 1
; COMPUTE_PGM_RSRC2:SCRATCH_EN: 0
; COMPUTE_PGM_RSRC2:USER_SGPR: 6
; COMPUTE_PGM_RSRC2:TRAP_HANDLER: 0
; COMPUTE_PGM_RSRC2:TGID_X_EN: 1
; COMPUTE_PGM_RSRC2:TGID_Y_EN: 0
; COMPUTE_PGM_RSRC2:TGID_Z_EN: 0
; COMPUTE_PGM_RSRC2:TIDIG_COMP_CNT: 0
	.text
	.p2alignl 6, 3214868480
	.fill 48, 4, 3214868480
	.type	__hip_cuid_4cf9bb679e158a28,@object ; @__hip_cuid_4cf9bb679e158a28
	.section	.bss,"aw",@nobits
	.globl	__hip_cuid_4cf9bb679e158a28
__hip_cuid_4cf9bb679e158a28:
	.byte	0                               ; 0x0
	.size	__hip_cuid_4cf9bb679e158a28, 1

	.ident	"AMD clang version 19.0.0git (https://github.com/RadeonOpenCompute/llvm-project roc-6.4.0 25133 c7fe45cf4b819c5991fe208aaa96edf142730f1d)"
	.section	".note.GNU-stack","",@progbits
	.addrsig
	.addrsig_sym __hip_cuid_4cf9bb679e158a28
	.amdgpu_metadata
---
amdhsa.kernels:
  - .args:
      - .actual_access:  read_only
        .address_space:  global
        .offset:         0
        .size:           8
        .value_kind:     global_buffer
      - .offset:         8
        .size:           8
        .value_kind:     by_value
      - .actual_access:  read_only
        .address_space:  global
        .offset:         16
        .size:           8
        .value_kind:     global_buffer
      - .actual_access:  read_only
        .address_space:  global
        .offset:         24
        .size:           8
        .value_kind:     global_buffer
      - .actual_access:  read_only
        .address_space:  global
        .offset:         32
        .size:           8
        .value_kind:     global_buffer
      - .offset:         40
        .size:           8
        .value_kind:     by_value
      - .actual_access:  read_only
        .address_space:  global
        .offset:         48
        .size:           8
        .value_kind:     global_buffer
      - .actual_access:  read_only
        .address_space:  global
        .offset:         56
        .size:           8
        .value_kind:     global_buffer
      - .offset:         64
        .size:           4
        .value_kind:     by_value
      - .actual_access:  read_only
        .address_space:  global
        .offset:         72
        .size:           8
        .value_kind:     global_buffer
      - .actual_access:  read_only
        .address_space:  global
        .offset:         80
        .size:           8
        .value_kind:     global_buffer
      - .actual_access:  read_only
        .address_space:  global
        .offset:         88
        .size:           8
        .value_kind:     global_buffer
      - .actual_access:  write_only
        .address_space:  global
        .offset:         96
        .size:           8
        .value_kind:     global_buffer
    .group_segment_fixed_size: 0
    .kernarg_segment_align: 8
    .kernarg_segment_size: 104
    .language:       OpenCL C
    .language_version:
      - 2
      - 0
    .max_flat_workgroup_size: 60
    .name:           fft_rtc_fwd_len200_factors_10_10_2_wgs_60_tpt_20_halfLds_dp_op_CI_CI_unitstride_sbrr_dirReg
    .private_segment_fixed_size: 0
    .sgpr_count:     29
    .sgpr_spill_count: 0
    .symbol:         fft_rtc_fwd_len200_factors_10_10_2_wgs_60_tpt_20_halfLds_dp_op_CI_CI_unitstride_sbrr_dirReg.kd
    .uniform_work_group_size: 1
    .uses_dynamic_stack: false
    .vgpr_count:     96
    .vgpr_spill_count: 0
    .wavefront_size: 32
    .workgroup_processor_mode: 1
amdhsa.target:   amdgcn-amd-amdhsa--gfx1030
amdhsa.version:
  - 1
  - 2
...

	.end_amdgpu_metadata
